;; amdgpu-corpus repo=zjin-lcf/HeCBench kind=compiled arch=gfx950 opt=O3
	.amdgcn_target "amdgcn-amd-amdhsa--gfx950"
	.amdhsa_code_object_version 6
	.section	.text._Z9AoSKernelILi4096EEvPK9AppleTreePi,"axG",@progbits,_Z9AoSKernelILi4096EEvPK9AppleTreePi,comdat
	.protected	_Z9AoSKernelILi4096EEvPK9AppleTreePi ; -- Begin function _Z9AoSKernelILi4096EEvPK9AppleTreePi
	.globl	_Z9AoSKernelILi4096EEvPK9AppleTreePi
	.p2align	8
	.type	_Z9AoSKernelILi4096EEvPK9AppleTreePi,@function
_Z9AoSKernelILi4096EEvPK9AppleTreePi:   ; @_Z9AoSKernelILi4096EEvPK9AppleTreePi
; %bb.0:
	s_load_dword s3, s[0:1], 0x1c
	s_load_dwordx4 s[4:7], s[0:1], 0x0
	v_mov_b32_e32 v1, 0
	v_mov_b32_e32 v5, v1
	;; [unrolled: 1-line block ×3, first 2 shown]
	s_waitcnt lgkmcnt(0)
	s_and_b32 s0, s3, 0xffff
	s_mul_i32 s2, s2, s0
	v_add_u32_e32 v0, s2, v0
	v_lshlrev_b64 v[2:3], 14, v[0:1]
	v_lshl_add_u64 v[2:3], s[4:5], 0, v[2:3]
	s_mov_b64 s[0:1], 0
.LBB0_1:                                ; =>This Inner Loop Header: Depth=1
	v_lshl_add_u64 v[38:39], v[2:3], 0, s[0:1]
	global_load_dwordx4 v[6:9], v[38:39], off
	global_load_dwordx4 v[10:13], v[38:39], off offset:16
	global_load_dwordx4 v[14:17], v[38:39], off offset:32
	;; [unrolled: 1-line block ×7, first 2 shown]
	s_add_u32 s0, s0, 0x80
	s_addc_u32 s1, s1, 0
	s_cmpk_lg_i32 s0, 0x4000
	s_waitcnt vmcnt(7)
	v_add3_u32 v5, v6, v5, v8
	v_add3_u32 v4, v7, v4, v9
	s_waitcnt vmcnt(6)
	v_add3_u32 v4, v11, v4, v13
	v_add3_u32 v5, v10, v5, v12
	;; [unrolled: 3-line block ×8, first 2 shown]
	s_cbranch_scc1 .LBB0_1
; %bb.2:
	v_add_u32_e32 v2, v5, v4
	v_lshl_add_u64 v[0:1], v[0:1], 2, s[6:7]
	global_store_dword v[0:1], v2, off
	s_endpgm
	.section	.rodata,"a",@progbits
	.p2align	6, 0x0
	.amdhsa_kernel _Z9AoSKernelILi4096EEvPK9AppleTreePi
		.amdhsa_group_segment_fixed_size 0
		.amdhsa_private_segment_fixed_size 0
		.amdhsa_kernarg_size 272
		.amdhsa_user_sgpr_count 2
		.amdhsa_user_sgpr_dispatch_ptr 0
		.amdhsa_user_sgpr_queue_ptr 0
		.amdhsa_user_sgpr_kernarg_segment_ptr 1
		.amdhsa_user_sgpr_dispatch_id 0
		.amdhsa_user_sgpr_kernarg_preload_length 0
		.amdhsa_user_sgpr_kernarg_preload_offset 0
		.amdhsa_user_sgpr_private_segment_size 0
		.amdhsa_uses_dynamic_stack 0
		.amdhsa_enable_private_segment 0
		.amdhsa_system_sgpr_workgroup_id_x 1
		.amdhsa_system_sgpr_workgroup_id_y 0
		.amdhsa_system_sgpr_workgroup_id_z 0
		.amdhsa_system_sgpr_workgroup_info 0
		.amdhsa_system_vgpr_workitem_id 0
		.amdhsa_next_free_vgpr 40
		.amdhsa_next_free_sgpr 8
		.amdhsa_accum_offset 40
		.amdhsa_reserve_vcc 0
		.amdhsa_float_round_mode_32 0
		.amdhsa_float_round_mode_16_64 0
		.amdhsa_float_denorm_mode_32 3
		.amdhsa_float_denorm_mode_16_64 3
		.amdhsa_dx10_clamp 1
		.amdhsa_ieee_mode 1
		.amdhsa_fp16_overflow 0
		.amdhsa_tg_split 0
		.amdhsa_exception_fp_ieee_invalid_op 0
		.amdhsa_exception_fp_denorm_src 0
		.amdhsa_exception_fp_ieee_div_zero 0
		.amdhsa_exception_fp_ieee_overflow 0
		.amdhsa_exception_fp_ieee_underflow 0
		.amdhsa_exception_fp_ieee_inexact 0
		.amdhsa_exception_int_div_zero 0
	.end_amdhsa_kernel
	.section	.text._Z9AoSKernelILi4096EEvPK9AppleTreePi,"axG",@progbits,_Z9AoSKernelILi4096EEvPK9AppleTreePi,comdat
.Lfunc_end0:
	.size	_Z9AoSKernelILi4096EEvPK9AppleTreePi, .Lfunc_end0-_Z9AoSKernelILi4096EEvPK9AppleTreePi
                                        ; -- End function
	.set _Z9AoSKernelILi4096EEvPK9AppleTreePi.num_vgpr, 40
	.set _Z9AoSKernelILi4096EEvPK9AppleTreePi.num_agpr, 0
	.set _Z9AoSKernelILi4096EEvPK9AppleTreePi.numbered_sgpr, 8
	.set _Z9AoSKernelILi4096EEvPK9AppleTreePi.num_named_barrier, 0
	.set _Z9AoSKernelILi4096EEvPK9AppleTreePi.private_seg_size, 0
	.set _Z9AoSKernelILi4096EEvPK9AppleTreePi.uses_vcc, 0
	.set _Z9AoSKernelILi4096EEvPK9AppleTreePi.uses_flat_scratch, 0
	.set _Z9AoSKernelILi4096EEvPK9AppleTreePi.has_dyn_sized_stack, 0
	.set _Z9AoSKernelILi4096EEvPK9AppleTreePi.has_recursion, 0
	.set _Z9AoSKernelILi4096EEvPK9AppleTreePi.has_indirect_call, 0
	.section	.AMDGPU.csdata,"",@progbits
; Kernel info:
; codeLenInByte = 344
; TotalNumSgprs: 14
; NumVgprs: 40
; NumAgprs: 0
; TotalNumVgprs: 40
; ScratchSize: 0
; MemoryBound: 1
; FloatMode: 240
; IeeeMode: 1
; LDSByteSize: 0 bytes/workgroup (compile time only)
; SGPRBlocks: 1
; VGPRBlocks: 4
; NumSGPRsForWavesPerEU: 14
; NumVGPRsForWavesPerEU: 40
; AccumOffset: 40
; Occupancy: 8
; WaveLimiterHint : 0
; COMPUTE_PGM_RSRC2:SCRATCH_EN: 0
; COMPUTE_PGM_RSRC2:USER_SGPR: 2
; COMPUTE_PGM_RSRC2:TRAP_HANDLER: 0
; COMPUTE_PGM_RSRC2:TGID_X_EN: 1
; COMPUTE_PGM_RSRC2:TGID_Y_EN: 0
; COMPUTE_PGM_RSRC2:TGID_Z_EN: 0
; COMPUTE_PGM_RSRC2:TIDIG_COMP_CNT: 0
; COMPUTE_PGM_RSRC3_GFX90A:ACCUM_OFFSET: 9
; COMPUTE_PGM_RSRC3_GFX90A:TG_SPLIT: 0
	.section	.text._Z9SoAKernelILi4096EEvPK13ApplesOnTreesPi,"axG",@progbits,_Z9SoAKernelILi4096EEvPK13ApplesOnTreesPi,comdat
	.protected	_Z9SoAKernelILi4096EEvPK13ApplesOnTreesPi ; -- Begin function _Z9SoAKernelILi4096EEvPK13ApplesOnTreesPi
	.globl	_Z9SoAKernelILi4096EEvPK13ApplesOnTreesPi
	.p2align	8
	.type	_Z9SoAKernelILi4096EEvPK13ApplesOnTreesPi,@function
_Z9SoAKernelILi4096EEvPK13ApplesOnTreesPi: ; @_Z9SoAKernelILi4096EEvPK13ApplesOnTreesPi
; %bb.0:
	s_load_dword s3, s[0:1], 0x1c
	s_load_dwordx4 s[4:7], s[0:1], 0x0
	v_mov_b32_e32 v1, 0
	v_mov_b32_e32 v5, v1
	;; [unrolled: 1-line block ×3, first 2 shown]
	s_waitcnt lgkmcnt(0)
	s_and_b32 s0, s3, 0xffff
	s_mul_i32 s2, s2, s0
	v_add_u32_e32 v0, s2, v0
	s_mov_b32 s3, 0
	v_lshl_add_u64 v[2:3], v[0:1], 2, s[4:5]
	s_mov_b32 s0, 1
	s_movk_i32 s4, 0x1000
	s_mov_b32 s2, s3
.LBB1_1:                                ; =>This Inner Loop Header: Depth=1
	s_lshl_b64 s[8:9], s[2:3], 14
	s_mov_b32 s1, s3
	s_add_i32 s10, s0, 2
	s_add_i32 s12, s2, 2
	s_mov_b32 s13, s3
	s_mov_b32 s11, s3
	s_add_i32 s14, s0, 4
	s_add_i32 s16, s2, 4
	s_mov_b32 s17, s3
	;; [unrolled: 4-line block ×7, first 2 shown]
	s_mov_b32 s37, s3
	v_lshl_add_u64 v[6:7], v[2:3], 0, s[8:9]
	s_lshl_b64 s[8:9], s[0:1], 14
	s_lshl_b64 s[12:13], s[12:13], 14
	;; [unrolled: 1-line block ×15, first 2 shown]
	v_lshl_add_u64 v[8:9], v[2:3], 0, s[8:9]
	v_lshl_add_u64 v[10:11], v[2:3], 0, s[12:13]
	;; [unrolled: 1-line block ×15, first 2 shown]
	global_load_dword v38, v[6:7], off
	global_load_dword v39, v[8:9], off
	;; [unrolled: 1-line block ×15, first 2 shown]
                                        ; kill: killed $vgpr24_vgpr25
                                        ; kill: killed $vgpr32_vgpr33
                                        ; kill: killed $vgpr10_vgpr11
                                        ; kill: killed $vgpr18_vgpr19
                                        ; kill: killed $vgpr36_vgpr37
                                        ; kill: killed $vgpr26_vgpr27
                                        ; kill: killed $vgpr12_vgpr13
                                        ; kill: killed $vgpr6_vgpr7
                                        ; kill: killed $vgpr20_vgpr21
                                        ; kill: killed $vgpr14_vgpr15
                                        ; kill: killed $vgpr28_vgpr29
                                        ; kill: killed $vgpr22_vgpr23
                                        ; kill: killed $vgpr8_vgpr9
                                        ; kill: killed $vgpr30_vgpr31
                                        ; kill: killed $vgpr16_vgpr17
	global_load_dword v6, v[34:35], off
	s_add_i32 s2, s2, 16
	s_add_i32 s4, s4, -16
	s_add_i32 s0, s0, 16
	s_cmp_lg_u32 s4, 0
	s_waitcnt vmcnt(13)
	v_add3_u32 v5, v38, v5, v40
	s_waitcnt vmcnt(12)
	v_add3_u32 v4, v39, v4, v41
	;; [unrolled: 2-line block ×8, first 2 shown]
	s_cbranch_scc1 .LBB1_1
; %bb.2:
	v_add_u32_e32 v2, v5, v4
	v_lshl_add_u64 v[0:1], v[0:1], 2, s[6:7]
	global_store_dword v[0:1], v2, off
	s_endpgm
	.section	.rodata,"a",@progbits
	.p2align	6, 0x0
	.amdhsa_kernel _Z9SoAKernelILi4096EEvPK13ApplesOnTreesPi
		.amdhsa_group_segment_fixed_size 0
		.amdhsa_private_segment_fixed_size 0
		.amdhsa_kernarg_size 272
		.amdhsa_user_sgpr_count 2
		.amdhsa_user_sgpr_dispatch_ptr 0
		.amdhsa_user_sgpr_queue_ptr 0
		.amdhsa_user_sgpr_kernarg_segment_ptr 1
		.amdhsa_user_sgpr_dispatch_id 0
		.amdhsa_user_sgpr_kernarg_preload_length 0
		.amdhsa_user_sgpr_kernarg_preload_offset 0
		.amdhsa_user_sgpr_private_segment_size 0
		.amdhsa_uses_dynamic_stack 0
		.amdhsa_enable_private_segment 0
		.amdhsa_system_sgpr_workgroup_id_x 1
		.amdhsa_system_sgpr_workgroup_id_y 0
		.amdhsa_system_sgpr_workgroup_id_z 0
		.amdhsa_system_sgpr_workgroup_info 0
		.amdhsa_system_vgpr_workitem_id 0
		.amdhsa_next_free_vgpr 53
		.amdhsa_next_free_sgpr 40
		.amdhsa_accum_offset 56
		.amdhsa_reserve_vcc 0
		.amdhsa_float_round_mode_32 0
		.amdhsa_float_round_mode_16_64 0
		.amdhsa_float_denorm_mode_32 3
		.amdhsa_float_denorm_mode_16_64 3
		.amdhsa_dx10_clamp 1
		.amdhsa_ieee_mode 1
		.amdhsa_fp16_overflow 0
		.amdhsa_tg_split 0
		.amdhsa_exception_fp_ieee_invalid_op 0
		.amdhsa_exception_fp_denorm_src 0
		.amdhsa_exception_fp_ieee_div_zero 0
		.amdhsa_exception_fp_ieee_overflow 0
		.amdhsa_exception_fp_ieee_underflow 0
		.amdhsa_exception_fp_ieee_inexact 0
		.amdhsa_exception_int_div_zero 0
	.end_amdhsa_kernel
	.section	.text._Z9SoAKernelILi4096EEvPK13ApplesOnTreesPi,"axG",@progbits,_Z9SoAKernelILi4096EEvPK13ApplesOnTreesPi,comdat
.Lfunc_end1:
	.size	_Z9SoAKernelILi4096EEvPK13ApplesOnTreesPi, .Lfunc_end1-_Z9SoAKernelILi4096EEvPK13ApplesOnTreesPi
                                        ; -- End function
	.set _Z9SoAKernelILi4096EEvPK13ApplesOnTreesPi.num_vgpr, 53
	.set _Z9SoAKernelILi4096EEvPK13ApplesOnTreesPi.num_agpr, 0
	.set _Z9SoAKernelILi4096EEvPK13ApplesOnTreesPi.numbered_sgpr, 40
	.set _Z9SoAKernelILi4096EEvPK13ApplesOnTreesPi.num_named_barrier, 0
	.set _Z9SoAKernelILi4096EEvPK13ApplesOnTreesPi.private_seg_size, 0
	.set _Z9SoAKernelILi4096EEvPK13ApplesOnTreesPi.uses_vcc, 0
	.set _Z9SoAKernelILi4096EEvPK13ApplesOnTreesPi.uses_flat_scratch, 0
	.set _Z9SoAKernelILi4096EEvPK13ApplesOnTreesPi.has_dyn_sized_stack, 0
	.set _Z9SoAKernelILi4096EEvPK13ApplesOnTreesPi.has_recursion, 0
	.set _Z9SoAKernelILi4096EEvPK13ApplesOnTreesPi.has_indirect_call, 0
	.section	.AMDGPU.csdata,"",@progbits
; Kernel info:
; codeLenInByte = 648
; TotalNumSgprs: 46
; NumVgprs: 53
; NumAgprs: 0
; TotalNumVgprs: 53
; ScratchSize: 0
; MemoryBound: 0
; FloatMode: 240
; IeeeMode: 1
; LDSByteSize: 0 bytes/workgroup (compile time only)
; SGPRBlocks: 5
; VGPRBlocks: 6
; NumSGPRsForWavesPerEU: 46
; NumVGPRsForWavesPerEU: 53
; AccumOffset: 56
; Occupancy: 8
; WaveLimiterHint : 0
; COMPUTE_PGM_RSRC2:SCRATCH_EN: 0
; COMPUTE_PGM_RSRC2:USER_SGPR: 2
; COMPUTE_PGM_RSRC2:TRAP_HANDLER: 0
; COMPUTE_PGM_RSRC2:TGID_X_EN: 1
; COMPUTE_PGM_RSRC2:TGID_Y_EN: 0
; COMPUTE_PGM_RSRC2:TGID_Z_EN: 0
; COMPUTE_PGM_RSRC2:TIDIG_COMP_CNT: 0
; COMPUTE_PGM_RSRC3_GFX90A:ACCUM_OFFSET: 13
; COMPUTE_PGM_RSRC3_GFX90A:TG_SPLIT: 0
	.section	.AMDGPU.gpr_maximums,"",@progbits
	.set amdgpu.max_num_vgpr, 0
	.set amdgpu.max_num_agpr, 0
	.set amdgpu.max_num_sgpr, 0
	.section	.AMDGPU.csdata,"",@progbits
	.type	__hip_cuid_662326b2847e6b23,@object ; @__hip_cuid_662326b2847e6b23
	.section	.bss,"aw",@nobits
	.globl	__hip_cuid_662326b2847e6b23
__hip_cuid_662326b2847e6b23:
	.byte	0                               ; 0x0
	.size	__hip_cuid_662326b2847e6b23, 1

	.ident	"AMD clang version 22.0.0git (https://github.com/RadeonOpenCompute/llvm-project roc-7.2.4 26084 f58b06dce1f9c15707c5f808fd002e18c2accf7e)"
	.section	".note.GNU-stack","",@progbits
	.addrsig
	.addrsig_sym __hip_cuid_662326b2847e6b23
	.amdgpu_metadata
---
amdhsa.kernels:
  - .agpr_count:     0
    .args:
      - .actual_access:  read_only
        .address_space:  global
        .offset:         0
        .size:           8
        .value_kind:     global_buffer
      - .actual_access:  write_only
        .address_space:  global
        .offset:         8
        .size:           8
        .value_kind:     global_buffer
      - .offset:         16
        .size:           4
        .value_kind:     hidden_block_count_x
      - .offset:         20
        .size:           4
        .value_kind:     hidden_block_count_y
      - .offset:         24
        .size:           4
        .value_kind:     hidden_block_count_z
      - .offset:         28
        .size:           2
        .value_kind:     hidden_group_size_x
      - .offset:         30
        .size:           2
        .value_kind:     hidden_group_size_y
      - .offset:         32
        .size:           2
        .value_kind:     hidden_group_size_z
      - .offset:         34
        .size:           2
        .value_kind:     hidden_remainder_x
      - .offset:         36
        .size:           2
        .value_kind:     hidden_remainder_y
      - .offset:         38
        .size:           2
        .value_kind:     hidden_remainder_z
      - .offset:         56
        .size:           8
        .value_kind:     hidden_global_offset_x
      - .offset:         64
        .size:           8
        .value_kind:     hidden_global_offset_y
      - .offset:         72
        .size:           8
        .value_kind:     hidden_global_offset_z
      - .offset:         80
        .size:           2
        .value_kind:     hidden_grid_dims
    .group_segment_fixed_size: 0
    .kernarg_segment_align: 8
    .kernarg_segment_size: 272
    .language:       OpenCL C
    .language_version:
      - 2
      - 0
    .max_flat_workgroup_size: 1024
    .name:           _Z9AoSKernelILi4096EEvPK9AppleTreePi
    .private_segment_fixed_size: 0
    .sgpr_count:     14
    .sgpr_spill_count: 0
    .symbol:         _Z9AoSKernelILi4096EEvPK9AppleTreePi.kd
    .uniform_work_group_size: 1
    .uses_dynamic_stack: false
    .vgpr_count:     40
    .vgpr_spill_count: 0
    .wavefront_size: 64
  - .agpr_count:     0
    .args:
      - .actual_access:  read_only
        .address_space:  global
        .offset:         0
        .size:           8
        .value_kind:     global_buffer
      - .actual_access:  write_only
        .address_space:  global
        .offset:         8
        .size:           8
        .value_kind:     global_buffer
      - .offset:         16
        .size:           4
        .value_kind:     hidden_block_count_x
      - .offset:         20
        .size:           4
        .value_kind:     hidden_block_count_y
      - .offset:         24
        .size:           4
        .value_kind:     hidden_block_count_z
      - .offset:         28
        .size:           2
        .value_kind:     hidden_group_size_x
      - .offset:         30
        .size:           2
        .value_kind:     hidden_group_size_y
      - .offset:         32
        .size:           2
        .value_kind:     hidden_group_size_z
      - .offset:         34
        .size:           2
        .value_kind:     hidden_remainder_x
      - .offset:         36
        .size:           2
        .value_kind:     hidden_remainder_y
      - .offset:         38
        .size:           2
        .value_kind:     hidden_remainder_z
      - .offset:         56
        .size:           8
        .value_kind:     hidden_global_offset_x
      - .offset:         64
        .size:           8
        .value_kind:     hidden_global_offset_y
      - .offset:         72
        .size:           8
        .value_kind:     hidden_global_offset_z
      - .offset:         80
        .size:           2
        .value_kind:     hidden_grid_dims
    .group_segment_fixed_size: 0
    .kernarg_segment_align: 8
    .kernarg_segment_size: 272
    .language:       OpenCL C
    .language_version:
      - 2
      - 0
    .max_flat_workgroup_size: 1024
    .name:           _Z9SoAKernelILi4096EEvPK13ApplesOnTreesPi
    .private_segment_fixed_size: 0
    .sgpr_count:     46
    .sgpr_spill_count: 0
    .symbol:         _Z9SoAKernelILi4096EEvPK13ApplesOnTreesPi.kd
    .uniform_work_group_size: 1
    .uses_dynamic_stack: false
    .vgpr_count:     53
    .vgpr_spill_count: 0
    .wavefront_size: 64
amdhsa.target:   amdgcn-amd-amdhsa--gfx950
amdhsa.version:
  - 1
  - 2
...

	.end_amdgpu_metadata
